;; amdgpu-corpus repo=ROCm/rocFFT kind=compiled arch=gfx906 opt=O3
	.text
	.amdgcn_target "amdgcn-amd-amdhsa--gfx906"
	.amdhsa_code_object_version 6
	.protected	fft_rtc_fwd_len288_factors_6_6_4_2_wgs_120_tpt_24_halfLds_sp_ip_CI_unitstride_sbrr_R2C_dirReg ; -- Begin function fft_rtc_fwd_len288_factors_6_6_4_2_wgs_120_tpt_24_halfLds_sp_ip_CI_unitstride_sbrr_R2C_dirReg
	.globl	fft_rtc_fwd_len288_factors_6_6_4_2_wgs_120_tpt_24_halfLds_sp_ip_CI_unitstride_sbrr_R2C_dirReg
	.p2align	8
	.type	fft_rtc_fwd_len288_factors_6_6_4_2_wgs_120_tpt_24_halfLds_sp_ip_CI_unitstride_sbrr_R2C_dirReg,@function
fft_rtc_fwd_len288_factors_6_6_4_2_wgs_120_tpt_24_halfLds_sp_ip_CI_unitstride_sbrr_R2C_dirReg: ; @fft_rtc_fwd_len288_factors_6_6_4_2_wgs_120_tpt_24_halfLds_sp_ip_CI_unitstride_sbrr_R2C_dirReg
; %bb.0:
	s_load_dwordx2 s[2:3], s[4:5], 0x50
	s_load_dwordx4 s[8:11], s[4:5], 0x0
	s_load_dwordx2 s[12:13], s[4:5], 0x18
	v_mul_u32_u24_e32 v1, 0xaab, v0
	v_lshrrev_b32_e32 v1, 16, v1
	v_mad_u64_u32 v[1:2], s[0:1], s6, 5, v[1:2]
	v_mov_b32_e32 v5, 0
	s_waitcnt lgkmcnt(0)
	v_cmp_lt_u64_e64 s[0:1], s[10:11], 2
	v_mov_b32_e32 v2, v5
	v_mov_b32_e32 v3, 0
	;; [unrolled: 1-line block ×3, first 2 shown]
	s_and_b64 vcc, exec, s[0:1]
	v_mov_b32_e32 v4, 0
	v_mov_b32_e32 v9, v1
	s_cbranch_vccnz .LBB0_8
; %bb.1:
	s_load_dwordx2 s[0:1], s[4:5], 0x10
	s_add_u32 s6, s12, 8
	s_addc_u32 s7, s13, 0
	v_mov_b32_e32 v3, 0
	v_mov_b32_e32 v8, v2
	s_waitcnt lgkmcnt(0)
	s_add_u32 s16, s0, 8
	s_mov_b64 s[14:15], 1
	v_mov_b32_e32 v4, 0
	s_addc_u32 s17, s1, 0
	v_mov_b32_e32 v7, v1
.LBB0_2:                                ; =>This Inner Loop Header: Depth=1
	s_load_dwordx2 s[18:19], s[16:17], 0x0
                                        ; implicit-def: $vgpr9_vgpr10
	s_waitcnt lgkmcnt(0)
	v_or_b32_e32 v6, s19, v8
	v_cmp_ne_u64_e32 vcc, 0, v[5:6]
	s_and_saveexec_b64 s[0:1], vcc
	s_xor_b64 s[20:21], exec, s[0:1]
	s_cbranch_execz .LBB0_4
; %bb.3:                                ;   in Loop: Header=BB0_2 Depth=1
	v_cvt_f32_u32_e32 v2, s18
	v_cvt_f32_u32_e32 v6, s19
	s_sub_u32 s0, 0, s18
	s_subb_u32 s1, 0, s19
	v_mac_f32_e32 v2, 0x4f800000, v6
	v_rcp_f32_e32 v2, v2
	v_mul_f32_e32 v2, 0x5f7ffffc, v2
	v_mul_f32_e32 v6, 0x2f800000, v2
	v_trunc_f32_e32 v6, v6
	v_mac_f32_e32 v2, 0xcf800000, v6
	v_cvt_u32_f32_e32 v6, v6
	v_cvt_u32_f32_e32 v2, v2
	v_mul_lo_u32 v9, s0, v6
	v_mul_hi_u32 v10, s0, v2
	v_mul_lo_u32 v12, s1, v2
	v_mul_lo_u32 v11, s0, v2
	v_add_u32_e32 v9, v10, v9
	v_add_u32_e32 v9, v9, v12
	v_mul_hi_u32 v10, v2, v11
	v_mul_lo_u32 v12, v2, v9
	v_mul_hi_u32 v14, v2, v9
	v_mul_hi_u32 v13, v6, v11
	v_mul_lo_u32 v11, v6, v11
	v_mul_hi_u32 v15, v6, v9
	v_add_co_u32_e32 v10, vcc, v10, v12
	v_addc_co_u32_e32 v12, vcc, 0, v14, vcc
	v_mul_lo_u32 v9, v6, v9
	v_add_co_u32_e32 v10, vcc, v10, v11
	v_addc_co_u32_e32 v10, vcc, v12, v13, vcc
	v_addc_co_u32_e32 v11, vcc, 0, v15, vcc
	v_add_co_u32_e32 v9, vcc, v10, v9
	v_addc_co_u32_e32 v10, vcc, 0, v11, vcc
	v_add_co_u32_e32 v2, vcc, v2, v9
	v_addc_co_u32_e32 v6, vcc, v6, v10, vcc
	v_mul_lo_u32 v9, s0, v6
	v_mul_hi_u32 v10, s0, v2
	v_mul_lo_u32 v11, s1, v2
	v_mul_lo_u32 v12, s0, v2
	v_add_u32_e32 v9, v10, v9
	v_add_u32_e32 v9, v9, v11
	v_mul_lo_u32 v13, v2, v9
	v_mul_hi_u32 v14, v2, v12
	v_mul_hi_u32 v15, v2, v9
	;; [unrolled: 1-line block ×3, first 2 shown]
	v_mul_lo_u32 v12, v6, v12
	v_mul_hi_u32 v10, v6, v9
	v_add_co_u32_e32 v13, vcc, v14, v13
	v_addc_co_u32_e32 v14, vcc, 0, v15, vcc
	v_mul_lo_u32 v9, v6, v9
	v_add_co_u32_e32 v12, vcc, v13, v12
	v_addc_co_u32_e32 v11, vcc, v14, v11, vcc
	v_addc_co_u32_e32 v10, vcc, 0, v10, vcc
	v_add_co_u32_e32 v9, vcc, v11, v9
	v_addc_co_u32_e32 v10, vcc, 0, v10, vcc
	v_add_co_u32_e32 v2, vcc, v2, v9
	v_addc_co_u32_e32 v6, vcc, v6, v10, vcc
	v_mad_u64_u32 v[9:10], s[0:1], v7, v6, 0
	v_mul_hi_u32 v11, v7, v2
	v_add_co_u32_e32 v13, vcc, v11, v9
	v_addc_co_u32_e32 v14, vcc, 0, v10, vcc
	v_mad_u64_u32 v[9:10], s[0:1], v8, v2, 0
	v_mad_u64_u32 v[11:12], s[0:1], v8, v6, 0
	v_add_co_u32_e32 v2, vcc, v13, v9
	v_addc_co_u32_e32 v2, vcc, v14, v10, vcc
	v_addc_co_u32_e32 v6, vcc, 0, v12, vcc
	v_add_co_u32_e32 v2, vcc, v2, v11
	v_addc_co_u32_e32 v6, vcc, 0, v6, vcc
	v_mul_lo_u32 v11, s19, v2
	v_mul_lo_u32 v12, s18, v6
	v_mad_u64_u32 v[9:10], s[0:1], s18, v2, 0
	v_add3_u32 v10, v10, v12, v11
	v_sub_u32_e32 v11, v8, v10
	v_mov_b32_e32 v12, s19
	v_sub_co_u32_e32 v9, vcc, v7, v9
	v_subb_co_u32_e64 v11, s[0:1], v11, v12, vcc
	v_subrev_co_u32_e64 v12, s[0:1], s18, v9
	v_subbrev_co_u32_e64 v11, s[0:1], 0, v11, s[0:1]
	v_cmp_le_u32_e64 s[0:1], s19, v11
	v_cndmask_b32_e64 v13, 0, -1, s[0:1]
	v_cmp_le_u32_e64 s[0:1], s18, v12
	v_cndmask_b32_e64 v12, 0, -1, s[0:1]
	v_cmp_eq_u32_e64 s[0:1], s19, v11
	v_cndmask_b32_e64 v11, v13, v12, s[0:1]
	v_add_co_u32_e64 v12, s[0:1], 2, v2
	v_addc_co_u32_e64 v13, s[0:1], 0, v6, s[0:1]
	v_add_co_u32_e64 v14, s[0:1], 1, v2
	v_addc_co_u32_e64 v15, s[0:1], 0, v6, s[0:1]
	v_subb_co_u32_e32 v10, vcc, v8, v10, vcc
	v_cmp_ne_u32_e64 s[0:1], 0, v11
	v_cmp_le_u32_e32 vcc, s19, v10
	v_cndmask_b32_e64 v11, v15, v13, s[0:1]
	v_cndmask_b32_e64 v13, 0, -1, vcc
	v_cmp_le_u32_e32 vcc, s18, v9
	v_cndmask_b32_e64 v9, 0, -1, vcc
	v_cmp_eq_u32_e32 vcc, s19, v10
	v_cndmask_b32_e32 v9, v13, v9, vcc
	v_cmp_ne_u32_e32 vcc, 0, v9
	v_cndmask_b32_e32 v10, v6, v11, vcc
	v_cndmask_b32_e64 v6, v14, v12, s[0:1]
	v_cndmask_b32_e32 v9, v2, v6, vcc
.LBB0_4:                                ;   in Loop: Header=BB0_2 Depth=1
	s_andn2_saveexec_b64 s[0:1], s[20:21]
	s_cbranch_execz .LBB0_6
; %bb.5:                                ;   in Loop: Header=BB0_2 Depth=1
	v_cvt_f32_u32_e32 v2, s18
	s_sub_i32 s20, 0, s18
	v_rcp_iflag_f32_e32 v2, v2
	v_mul_f32_e32 v2, 0x4f7ffffe, v2
	v_cvt_u32_f32_e32 v2, v2
	v_mul_lo_u32 v6, s20, v2
	v_mul_hi_u32 v6, v2, v6
	v_add_u32_e32 v2, v2, v6
	v_mul_hi_u32 v2, v7, v2
	v_mul_lo_u32 v6, v2, s18
	v_add_u32_e32 v9, 1, v2
	v_sub_u32_e32 v6, v7, v6
	v_subrev_u32_e32 v10, s18, v6
	v_cmp_le_u32_e32 vcc, s18, v6
	v_cndmask_b32_e32 v6, v6, v10, vcc
	v_cndmask_b32_e32 v2, v2, v9, vcc
	v_add_u32_e32 v9, 1, v2
	v_cmp_le_u32_e32 vcc, s18, v6
	v_cndmask_b32_e32 v9, v2, v9, vcc
	v_mov_b32_e32 v10, v5
.LBB0_6:                                ;   in Loop: Header=BB0_2 Depth=1
	s_or_b64 exec, exec, s[0:1]
	v_mul_lo_u32 v2, v10, s18
	v_mul_lo_u32 v6, v9, s19
	v_mad_u64_u32 v[11:12], s[0:1], v9, s18, 0
	s_load_dwordx2 s[0:1], s[6:7], 0x0
	s_add_u32 s14, s14, 1
	v_add3_u32 v2, v12, v6, v2
	v_sub_co_u32_e32 v6, vcc, v7, v11
	v_subb_co_u32_e32 v2, vcc, v8, v2, vcc
	s_waitcnt lgkmcnt(0)
	v_mul_lo_u32 v2, s0, v2
	v_mul_lo_u32 v7, s1, v6
	v_mad_u64_u32 v[3:4], s[0:1], s0, v6, v[3:4]
	s_addc_u32 s15, s15, 0
	s_add_u32 s6, s6, 8
	v_add3_u32 v4, v7, v4, v2
	v_mov_b32_e32 v6, s10
	v_mov_b32_e32 v7, s11
	s_addc_u32 s7, s7, 0
	v_cmp_ge_u64_e32 vcc, s[14:15], v[6:7]
	s_add_u32 s16, s16, 8
	s_addc_u32 s17, s17, 0
	s_cbranch_vccnz .LBB0_8
; %bb.7:                                ;   in Loop: Header=BB0_2 Depth=1
	v_mov_b32_e32 v7, v9
	v_mov_b32_e32 v8, v10
	s_branch .LBB0_2
.LBB0_8:
	s_lshl_b64 s[0:1], s[10:11], 3
	s_add_u32 s0, s12, s0
	s_addc_u32 s1, s13, s1
	s_load_dwordx2 s[0:1], s[0:1], 0x0
	s_mov_b32 s6, 0xcccccccd
	v_mul_hi_u32 v5, v1, s6
                                        ; implicit-def: $vgpr12
                                        ; implicit-def: $vgpr8
	s_waitcnt lgkmcnt(0)
	v_mul_lo_u32 v6, s0, v10
	v_mul_lo_u32 v7, s1, v9
	v_mad_u64_u32 v[2:3], s[0:1], s0, v9, v[3:4]
	s_load_dwordx2 s[0:1], s[4:5], 0x20
	s_mov_b32 s4, 0xaaaaaab
	v_lshrrev_b32_e32 v4, 2, v5
	v_mul_hi_u32 v5, v0, s4
	v_lshl_add_u32 v4, v4, 2, v4
	v_sub_u32_e32 v14, v1, v4
	s_waitcnt lgkmcnt(0)
	v_cmp_gt_u64_e32 vcc, s[0:1], v[9:10]
	v_mul_u32_u24_e32 v1, 24, v5
	v_cmp_le_u64_e64 s[0:1], s[0:1], v[9:10]
	v_sub_u32_e32 v0, v0, v1
	v_add3_u32 v3, v7, v3, v6
	v_add_u32_e32 v4, 24, v0
	v_add_u32_e32 v6, 48, v0
                                        ; implicit-def: $vgpr10
	s_and_saveexec_b64 s[4:5], s[0:1]
	s_xor_b64 s[0:1], exec, s[4:5]
; %bb.9:
	v_mov_b32_e32 v1, 0
	v_add_u32_e32 v4, 24, v0
	v_add_u32_e32 v6, 48, v0
	v_or_b32_e32 v10, 0x60, v0
	v_add_u32_e32 v12, 0x48, v0
	v_add_u32_e32 v8, 0x78, v0
	v_mov_b32_e32 v5, v1
	v_mov_b32_e32 v7, v1
	;; [unrolled: 1-line block ×5, first 2 shown]
; %bb.10:
	s_or_saveexec_b64 s[4:5], s[0:1]
	v_mul_u32_u24_e32 v14, 0x121, v14
	v_lshlrev_b64 v[2:3], 3, v[2:3]
	v_lshlrev_b32_e32 v14, 3, v14
	v_lshlrev_b32_e32 v24, 3, v0
	s_xor_b64 exec, exec, s[4:5]
	s_cbranch_execz .LBB0_12
; %bb.11:
	v_mov_b32_e32 v1, 0
	v_mov_b32_e32 v5, s3
	v_add_co_u32_e64 v9, s[0:1], s2, v2
	v_lshlrev_b64 v[7:8], 3, v[0:1]
	v_addc_co_u32_e64 v5, s[0:1], v5, v3, s[0:1]
	v_add_co_u32_e64 v7, s[0:1], v9, v7
	v_addc_co_u32_e64 v8, s[0:1], v5, v8, s[0:1]
	global_load_dwordx2 v[15:16], v[7:8], off
	global_load_dwordx2 v[17:18], v[7:8], off offset:192
	global_load_dwordx2 v[19:20], v[7:8], off offset:384
	;; [unrolled: 1-line block ×11, first 2 shown]
	v_add3_u32 v23, 0, v14, v24
	v_add_u32_e32 v12, 0x48, v0
	v_or_b32_e32 v10, 0x60, v0
	v_add_u32_e32 v8, 0x78, v0
	v_mov_b32_e32 v5, v1
	v_mov_b32_e32 v7, v1
	;; [unrolled: 1-line block ×5, first 2 shown]
	v_add_u32_e32 v41, 0x400, v23
	s_waitcnt vmcnt(10)
	ds_write2_b64 v23, v[15:16], v[17:18] offset1:24
	s_waitcnt vmcnt(8)
	ds_write2_b64 v23, v[19:20], v[21:22] offset0:48 offset1:72
	s_waitcnt vmcnt(6)
	ds_write2_b64 v23, v[25:26], v[27:28] offset0:96 offset1:120
	s_waitcnt vmcnt(4)
	ds_write2_b64 v23, v[29:30], v[31:32] offset0:144 offset1:168
	s_waitcnt vmcnt(2)
	ds_write2_b64 v23, v[33:34], v[35:36] offset0:192 offset1:216
	s_waitcnt vmcnt(0)
	ds_write2_b64 v41, v[37:38], v[39:40] offset0:112 offset1:136
.LBB0_12:
	s_or_b64 exec, exec, s[4:5]
	v_add_u32_e32 v23, 0, v14
	v_add3_u32 v20, 0, v24, v14
	s_waitcnt lgkmcnt(0)
	s_barrier
	v_add_u32_e32 v22, v23, v24
	ds_read2_b64 v[15:18], v20 offset0:72 offset1:96
	ds_read2_b64 v[25:28], v20 offset0:168 offset1:192
	ds_read_b64 v[41:42], v22
	ds_read2_b64 v[29:32], v20 offset0:120 offset1:144
	ds_read2_b64 v[33:36], v20 offset0:216 offset1:240
	;; [unrolled: 1-line block ×3, first 2 shown]
	ds_read_b64 v[43:44], v20 offset:2112
	s_waitcnt lgkmcnt(5)
	v_add_f32_e32 v21, v18, v28
	s_waitcnt lgkmcnt(4)
	v_add_f32_e32 v19, v42, v18
	;; [unrolled: 2-line block ×3, first 2 shown]
	v_fmac_f32_e32 v42, -0.5, v21
	v_add_f32_e32 v21, v31, v35
	s_waitcnt lgkmcnt(1)
	v_fma_f32 v47, -0.5, v47, v40
	v_fma_f32 v21, -0.5, v21, v39
	v_sub_f32_e32 v48, v31, v35
	v_mov_b32_e32 v49, v47
	v_sub_f32_e32 v45, v32, v36
	v_mov_b32_e32 v46, v21
	v_fmac_f32_e32 v49, 0xbf5db3d7, v48
	v_fmac_f32_e32 v46, 0x3f5db3d7, v45
	v_mul_f32_e32 v50, 0x3f5db3d7, v49
	v_fmac_f32_e32 v50, 0.5, v46
	v_mul_f32_e32 v46, 0xbf5db3d7, v46
	v_add_f32_e32 v51, v17, v27
	v_fmac_f32_e32 v46, 0.5, v49
	v_add_f32_e32 v49, v41, v17
	v_fma_f32 v41, -0.5, v51, v41
	v_sub_f32_e32 v53, v17, v27
	v_add_f32_e32 v17, v39, v31
	v_sub_f32_e32 v51, v18, v28
	v_mov_b32_e32 v52, v41
	v_mov_b32_e32 v54, v42
	v_add_f32_e32 v31, v17, v35
	v_add_f32_e32 v17, v40, v32
	;; [unrolled: 1-line block ×3, first 2 shown]
	v_fmac_f32_e32 v52, 0x3f5db3d7, v51
	v_add_f32_e32 v19, v19, v28
	v_fmac_f32_e32 v54, 0xbf5db3d7, v53
	v_add_f32_e32 v32, v17, v36
	v_add_f32_e32 v17, v49, v31
	;; [unrolled: 1-line block ×5, first 2 shown]
	v_mad_u32_u24 v35, v0, 40, v20
	v_fmac_f32_e32 v21, 0xbf5db3d7, v45
	v_fmac_f32_e32 v47, 0x3f5db3d7, v48
	s_waitcnt lgkmcnt(0)
	s_barrier
	ds_write2_b64 v35, v[17:18], v[27:28] offset1:1
	v_sub_f32_e32 v17, v49, v31
	v_sub_f32_e32 v18, v19, v32
	v_mul_f32_e32 v19, -0.5, v21
	v_mul_f32_e32 v31, -0.5, v47
	v_fmac_f32_e32 v41, 0xbf5db3d7, v51
	v_fmac_f32_e32 v42, 0x3f5db3d7, v53
	;; [unrolled: 1-line block ×4, first 2 shown]
	v_add_f32_e32 v27, v41, v19
	v_add_f32_e32 v28, v42, v31
	ds_write2_b64 v35, v[27:28], v[17:18] offset0:2 offset1:3
	v_sub_f32_e32 v18, v42, v31
	v_sub_f32_e32 v17, v41, v19
	;; [unrolled: 1-line block ×4, first 2 shown]
	ds_write2_b64 v35, v[27:28], v[17:18] offset0:4 offset1:5
	v_add_f32_e32 v17, v37, v29
	v_sub_f32_e32 v19, v30, v34
	v_add_f32_e32 v21, v38, v30
	v_add_f32_e32 v27, v30, v34
	v_add_f32_e32 v30, v25, v43
	v_sub_f32_e32 v31, v26, v44
	v_add_f32_e32 v32, v16, v26
	v_add_f32_e32 v26, v26, v44
	;; [unrolled: 4-line block ×3, first 2 shown]
	v_fmac_f32_e32 v16, -0.5, v26
	v_fma_f32 v15, -0.5, v30, v15
	v_add_f32_e32 v21, v21, v34
	v_sub_f32_e32 v33, v25, v43
	v_add_f32_e32 v34, v17, v43
	v_mov_b32_e32 v17, v15
	v_mov_b32_e32 v25, v16
	v_fmac_f32_e32 v38, -0.5, v27
	v_fmac_f32_e32 v17, 0x3f5db3d7, v31
	v_fmac_f32_e32 v25, 0xbf5db3d7, v33
	v_fma_f32 v35, -0.5, v18, v37
	v_mul_f32_e32 v27, 0x3f5db3d7, v25
	v_mul_f32_e32 v30, 0xbf5db3d7, v17
	v_mov_b32_e32 v36, v35
	v_mov_b32_e32 v37, v38
	v_add_f32_e32 v32, v32, v44
	v_fmac_f32_e32 v27, 0.5, v17
	v_fmac_f32_e32 v30, 0.5, v25
	v_fmac_f32_e32 v36, 0x3f5db3d7, v19
	v_fmac_f32_e32 v37, 0xbf5db3d7, v28
	v_mul_i32_i24_e32 v39, 6, v4
	v_add_f32_e32 v17, v29, v34
	v_add_f32_e32 v18, v21, v32
	;; [unrolled: 1-line block ×4, first 2 shown]
	v_lshl_add_u32 v49, v39, 3, v23
	v_fmac_f32_e32 v15, 0xbf5db3d7, v31
	v_fmac_f32_e32 v16, 0x3f5db3d7, v33
	ds_write2_b64 v49, v[17:18], v[25:26] offset1:1
	v_mul_f32_e32 v17, -0.5, v15
	v_mul_f32_e32 v18, -0.5, v16
	v_fmac_f32_e32 v17, 0x3f5db3d7, v16
	v_fmac_f32_e32 v38, 0x3f5db3d7, v28
	;; [unrolled: 1-line block ×4, first 2 shown]
	v_add_f32_e32 v16, v38, v18
	v_add_f32_e32 v15, v35, v17
	v_sub_f32_e32 v25, v29, v34
	v_sub_f32_e32 v26, v21, v32
	s_movk_i32 s0, 0xab
	v_sub_f32_e32 v18, v38, v18
	v_sub_f32_e32 v17, v35, v17
	;; [unrolled: 1-line block ×4, first 2 shown]
	ds_write2_b64 v49, v[15:16], v[25:26] offset0:2 offset1:3
	ds_write2_b64 v49, v[27:28], v[17:18] offset0:4 offset1:5
	v_mul_lo_u16_sdwa v15, v0, s0 dst_sel:DWORD dst_unused:UNUSED_PAD src0_sel:BYTE_0 src1_sel:DWORD
	v_lshrrev_b16_e32 v19, 10, v15
	v_mul_lo_u16_e32 v15, 6, v19
	v_sub_u16_e32 v50, v0, v15
	v_mov_b32_e32 v21, 5
	v_mul_u32_u24_sdwa v15, v50, v21 dst_sel:DWORD dst_unused:UNUSED_PAD src0_sel:BYTE_0 src1_sel:DWORD
	v_lshlrev_b32_e32 v37, 3, v15
	s_waitcnt lgkmcnt(0)
	s_barrier
	global_load_dwordx4 v[15:18], v37, s[8:9] offset:16
	v_mul_lo_u16_sdwa v25, v4, s0 dst_sel:DWORD dst_unused:UNUSED_PAD src0_sel:BYTE_0 src1_sel:DWORD
	v_lshrrev_b16_e32 v51, 10, v25
	v_mul_lo_u16_e32 v25, 6, v51
	v_sub_u16_e32 v52, v4, v25
	v_mul_u32_u24_sdwa v21, v52, v21 dst_sel:DWORD dst_unused:UNUSED_PAD src0_sel:BYTE_0 src1_sel:DWORD
	v_lshlrev_b32_e32 v21, 3, v21
	global_load_dwordx4 v[25:28], v21, s[8:9] offset:16
	global_load_dwordx4 v[29:32], v37, s[8:9]
	global_load_dwordx4 v[33:36], v21, s[8:9]
	global_load_dwordx2 v[45:46], v37, s[8:9] offset:32
	global_load_dwordx2 v[47:48], v21, s[8:9] offset:32
	ds_read2_b64 v[37:40], v20 offset0:144 offset1:168
	ds_read2_b64 v[41:44], v20 offset0:192 offset1:216
	s_movk_i32 s0, 0xffd8
	s_waitcnt vmcnt(5) lgkmcnt(1)
	v_mul_f32_e32 v21, v16, v38
	v_mul_f32_e32 v54, v16, v37
	v_fma_f32 v53, v15, v37, -v21
	v_fmac_f32_e32 v54, v15, v38
	s_waitcnt lgkmcnt(0)
	v_mul_f32_e32 v15, v18, v42
	v_fma_f32 v55, v17, v41, -v15
	v_mul_f32_e32 v41, v18, v41
	s_waitcnt vmcnt(4)
	v_mul_f32_e32 v15, v40, v26
	v_fmac_f32_e32 v41, v17, v42
	v_fma_f32 v42, v39, v25, -v15
	v_mul_f32_e32 v56, v39, v26
	v_mul_f32_e32 v15, v44, v28
	v_lshl_add_u32 v26, v6, 3, v23
	v_fma_f32 v57, v43, v27, -v15
	ds_read_b64 v[15:16], v26
	v_fmac_f32_e32 v56, v40, v25
	v_lshl_add_u32 v25, v10, 3, v23
	v_mad_i32_i24 v21, v4, s0, v49
	ds_read_b64 v[17:18], v25
	ds_read_b64 v[37:38], v21
	;; [unrolled: 1-line block ×3, first 2 shown]
	v_mul_f32_e32 v43, v43, v28
	v_fmac_f32_e32 v43, v44, v27
	s_waitcnt vmcnt(3) lgkmcnt(3)
	v_mul_f32_e32 v27, v30, v16
	v_fma_f32 v44, v29, v15, -v27
	v_mul_f32_e32 v30, v30, v15
	s_waitcnt lgkmcnt(2)
	v_mul_f32_e32 v15, v32, v18
	v_lshl_add_u32 v28, v12, 3, v23
	v_fmac_f32_e32 v30, v29, v16
	v_fma_f32 v49, v31, v17, -v15
	ds_read_b64 v[15:16], v28
	v_mul_f32_e32 v32, v32, v17
	v_lshl_add_u32 v27, v8, 3, v23
	v_fmac_f32_e32 v32, v31, v18
	ds_read_b64 v[17:18], v27
	s_waitcnt vmcnt(2) lgkmcnt(1)
	v_mul_f32_e32 v29, v16, v34
	v_fma_f32 v31, v15, v33, -v29
	v_mul_f32_e32 v34, v15, v34
	v_add_u32_e32 v29, 0x400, v20
	s_waitcnt lgkmcnt(0)
	v_mul_f32_e32 v15, v18, v36
	v_mul_f32_e32 v36, v17, v36
	v_fmac_f32_e32 v34, v16, v33
	v_fma_f32 v33, v17, v35, -v15
	v_fmac_f32_e32 v36, v18, v35
	ds_read2_b64 v[15:18], v29 offset0:112 offset1:136
	s_movk_i32 s0, 0x120
	s_waitcnt vmcnt(0) lgkmcnt(0)
	s_barrier
	v_mul_f32_e32 v35, v16, v46
	v_fma_f32 v35, v15, v45, -v35
	v_mul_f32_e32 v15, v15, v46
	v_fmac_f32_e32 v15, v16, v45
	v_mul_f32_e32 v16, v18, v48
	v_fma_f32 v45, v17, v47, -v16
	v_mul_f32_e32 v46, v17, v48
	v_add_f32_e32 v16, v40, v32
	v_fmac_f32_e32 v46, v18, v47
	v_add_f32_e32 v47, v16, v41
	v_add_f32_e32 v16, v32, v41
	;; [unrolled: 1-line block ×3, first 2 shown]
	v_fmac_f32_e32 v40, -0.5, v16
	v_add_f32_e32 v16, v39, v49
	v_add_f32_e32 v17, v44, v53
	v_fmac_f32_e32 v44, -0.5, v18
	v_add_f32_e32 v18, v30, v54
	v_sub_f32_e32 v48, v32, v41
	v_add_f32_e32 v32, v16, v55
	v_add_f32_e32 v16, v49, v55
	v_sub_f32_e32 v41, v49, v55
	v_add_f32_e32 v49, v18, v15
	v_sub_f32_e32 v55, v54, v15
	v_add_f32_e32 v15, v54, v15
	v_fmac_f32_e32 v30, -0.5, v15
	v_add_f32_e32 v54, v17, v35
	v_sub_f32_e32 v35, v53, v35
	v_mov_b32_e32 v17, v30
	v_mov_b32_e32 v15, v44
	v_fmac_f32_e32 v17, 0xbf5db3d7, v35
	v_fmac_f32_e32 v15, 0x3f5db3d7, v55
	v_mul_f32_e32 v53, 0x3f5db3d7, v17
	v_fma_f32 v39, -0.5, v16, v39
	v_fmac_f32_e32 v53, 0.5, v15
	v_mul_f32_e32 v58, 0xbf5db3d7, v15
	v_mad_u32_u24 v15, v19, s0, 0
	v_mov_b32_e32 v19, 3
	v_mov_b32_e32 v59, v39
	;; [unrolled: 1-line block ×3, first 2 shown]
	v_fmac_f32_e32 v58, 0.5, v17
	v_lshlrev_b32_sdwa v17, v19, v50 dst_sel:DWORD dst_unused:UNUSED_PAD src0_sel:DWORD src1_sel:BYTE_0
	v_fmac_f32_e32 v59, 0x3f5db3d7, v48
	v_fmac_f32_e32 v60, 0xbf5db3d7, v41
	v_add3_u32 v50, v15, v17, v14
	v_add_f32_e32 v15, v32, v54
	v_add_f32_e32 v16, v47, v49
	;; [unrolled: 1-line block ×4, first 2 shown]
	v_fmac_f32_e32 v44, 0xbf5db3d7, v55
	ds_write2_b64 v50, v[15:16], v[17:18] offset1:6
	v_sub_f32_e32 v15, v32, v54
	v_fmac_f32_e32 v30, 0x3f5db3d7, v35
	v_mul_f32_e32 v32, -0.5, v44
	v_fmac_f32_e32 v32, 0x3f5db3d7, v30
	v_mul_f32_e32 v30, -0.5, v30
	v_fmac_f32_e32 v39, 0xbf5db3d7, v48
	v_fmac_f32_e32 v40, 0x3f5db3d7, v41
	;; [unrolled: 1-line block ×3, first 2 shown]
	v_sub_f32_e32 v16, v47, v49
	v_add_f32_e32 v17, v39, v32
	v_add_f32_e32 v18, v40, v30
	ds_write2_b64 v50, v[17:18], v[15:16] offset0:12 offset1:18
	v_sub_f32_e32 v16, v40, v30
	v_sub_f32_e32 v15, v39, v32
	;; [unrolled: 1-line block ×4, first 2 shown]
	ds_write2_b64 v50, v[17:18], v[15:16] offset0:24 offset1:30
	v_add_f32_e32 v17, v42, v45
	v_add_f32_e32 v15, v38, v36
	;; [unrolled: 1-line block ×3, first 2 shown]
	v_fmac_f32_e32 v31, -0.5, v17
	v_add_f32_e32 v17, v34, v56
	v_add_f32_e32 v30, v15, v43
	v_sub_f32_e32 v32, v36, v43
	v_add_f32_e32 v15, v36, v43
	v_add_f32_e32 v36, v17, v46
	;; [unrolled: 1-line block ×3, first 2 shown]
	v_fmac_f32_e32 v38, -0.5, v15
	v_add_f32_e32 v15, v37, v33
	v_fmac_f32_e32 v34, -0.5, v17
	v_add_f32_e32 v35, v15, v57
	v_add_f32_e32 v15, v33, v57
	v_sub_f32_e32 v39, v56, v46
	v_add_f32_e32 v40, v16, v45
	v_sub_f32_e32 v41, v42, v45
	v_mov_b32_e32 v16, v31
	v_mov_b32_e32 v17, v34
	v_fmac_f32_e32 v16, 0x3f5db3d7, v39
	v_fmac_f32_e32 v17, 0xbf5db3d7, v41
	v_fma_f32 v37, -0.5, v15, v37
	v_sub_f32_e32 v33, v33, v57
	v_mul_f32_e32 v42, 0x3f5db3d7, v17
	v_mul_f32_e32 v43, 0xbf5db3d7, v16
	v_mov_b32_e32 v44, v37
	v_mov_b32_e32 v45, v38
	v_fmac_f32_e32 v42, 0.5, v16
	v_fmac_f32_e32 v43, 0.5, v17
	v_lshlrev_b32_sdwa v16, v19, v52 dst_sel:DWORD dst_unused:UNUSED_PAD src0_sel:DWORD src1_sel:BYTE_0
	v_mad_u32_u24 v17, v51, s0, 0
	v_fmac_f32_e32 v44, 0x3f5db3d7, v32
	v_fmac_f32_e32 v45, 0xbf5db3d7, v33
	v_add3_u32 v19, v17, v16, v14
	v_add_f32_e32 v15, v35, v40
	v_add_f32_e32 v16, v30, v36
	;; [unrolled: 1-line block ×4, first 2 shown]
	v_fmac_f32_e32 v31, 0xbf5db3d7, v39
	v_fmac_f32_e32 v34, 0x3f5db3d7, v41
	ds_write2_b64 v19, v[15:16], v[17:18] offset1:6
	v_sub_f32_e32 v16, v30, v36
	v_fmac_f32_e32 v37, 0xbf5db3d7, v32
	v_mul_f32_e32 v30, -0.5, v31
	v_mul_f32_e32 v32, -0.5, v34
	v_fmac_f32_e32 v38, 0x3f5db3d7, v33
	v_fmac_f32_e32 v30, 0x3f5db3d7, v34
	;; [unrolled: 1-line block ×3, first 2 shown]
	v_sub_f32_e32 v15, v35, v40
	v_add_f32_e32 v17, v37, v30
	v_add_f32_e32 v18, v38, v32
	ds_write2_b64 v19, v[17:18], v[15:16] offset0:12 offset1:18
	v_sub_f32_e32 v16, v38, v32
	v_sub_f32_e32 v15, v37, v30
	;; [unrolled: 1-line block ×4, first 2 shown]
	ds_write2_b64 v19, v[17:18], v[15:16] offset0:24 offset1:30
	v_mul_u32_u24_e32 v15, 3, v0
	v_lshlrev_b32_e32 v19, 3, v15
	s_waitcnt lgkmcnt(0)
	s_barrier
	global_load_dwordx4 v[15:18], v19, s[8:9] offset:240
	v_add_u32_e32 v30, -12, v0
	v_cmp_gt_u32_e64 s[0:1], 12, v0
	v_cndmask_b32_e64 v52, v30, v4, s[0:1]
	v_mul_i32_i24_e32 v30, 3, v52
	v_mov_b32_e32 v31, 0
	v_lshlrev_b64 v[30:31], 3, v[30:31]
	v_mov_b32_e32 v53, s9
	v_add_co_u32_e64 v38, s[0:1], s8, v30
	v_addc_co_u32_e64 v39, s[0:1], v53, v31, s[0:1]
	global_load_dwordx4 v[30:33], v[38:39], off offset:240
	global_load_dwordx2 v[42:43], v19, s[8:9] offset:256
	global_load_dwordx4 v[34:37], v19, s[8:9] offset:528
	global_load_dwordx2 v[44:45], v[38:39], off offset:256
	global_load_dwordx2 v[46:47], v19, s[8:9] offset:544
	ds_read_b64 v[48:49], v28
	ds_read2_b64 v[38:41], v20 offset0:144 offset1:168
	ds_read_b64 v[50:51], v27
	v_cmp_lt_u32_e64 s[0:1], 11, v0
	s_waitcnt vmcnt(5) lgkmcnt(2)
	v_mul_f32_e32 v19, v16, v49
	v_fma_f32 v19, v15, v48, -v19
	v_mul_f32_e32 v48, v16, v48
	v_fmac_f32_e32 v48, v15, v49
	s_waitcnt lgkmcnt(1)
	v_mul_f32_e32 v15, v18, v39
	v_mul_f32_e32 v54, v18, v38
	v_fma_f32 v49, v17, v38, -v15
	v_fmac_f32_e32 v54, v17, v39
	ds_read_b64 v[38:39], v25
	s_waitcnt vmcnt(4)
	v_mul_f32_e32 v15, v33, v41
	v_mul_f32_e32 v56, v33, v40
	v_fma_f32 v55, v32, v40, -v15
	v_fmac_f32_e32 v56, v32, v41
	ds_read_b64 v[32:33], v21
	ds_read_b64 v[40:41], v26
	ds_read2_b64 v[15:18], v20 offset0:192 offset1:216
	s_waitcnt lgkmcnt(3)
	v_mul_f32_e32 v57, v31, v39
	v_fma_f32 v57, v30, v38, -v57
	v_mul_f32_e32 v38, v31, v38
	v_fmac_f32_e32 v38, v30, v39
	s_waitcnt vmcnt(3) lgkmcnt(0)
	v_mul_f32_e32 v39, v43, v18
	v_fma_f32 v39, v42, v17, -v39
	v_mul_f32_e32 v43, v43, v17
	s_waitcnt vmcnt(2)
	v_mul_f32_e32 v17, v16, v37
	v_mul_f32_e32 v37, v15, v37
	v_fmac_f32_e32 v43, v42, v18
	v_fma_f32 v42, v15, v36, -v17
	v_fmac_f32_e32 v37, v16, v36
	ds_read2_b64 v[15:18], v29 offset0:112 offset1:136
	ds_read_b64 v[30:31], v22
	v_mul_f32_e32 v36, v51, v35
	v_fma_f32 v36, v50, v34, -v36
	v_mul_f32_e32 v50, v50, v35
	v_fmac_f32_e32 v50, v51, v34
	s_waitcnt vmcnt(1) lgkmcnt(1)
	v_mul_f32_e32 v34, v16, v45
	v_fma_f32 v51, v15, v44, -v34
	v_mul_f32_e32 v45, v15, v45
	s_waitcnt vmcnt(0)
	v_mul_f32_e32 v15, v18, v47
	v_mul_f32_e32 v47, v17, v47
	s_waitcnt lgkmcnt(0)
	v_sub_f32_e32 v34, v30, v49
	v_sub_f32_e32 v35, v31, v54
	v_fmac_f32_e32 v45, v16, v44
	v_fma_f32 v44, v17, v46, -v15
	v_fmac_f32_e32 v47, v18, v46
	v_fma_f32 v17, v30, 2.0, -v34
	v_fma_f32 v18, v31, 2.0, -v35
	v_sub_f32_e32 v31, v19, v39
	v_sub_f32_e32 v30, v48, v43
	v_fma_f32 v15, v19, 2.0, -v31
	v_fma_f32 v16, v48, 2.0, -v30
	v_sub_f32_e32 v15, v17, v15
	v_sub_f32_e32 v16, v18, v16
	;; [unrolled: 1-line block ×3, first 2 shown]
	v_add_f32_e32 v31, v35, v31
	v_fma_f32 v17, v17, 2.0, -v15
	v_fma_f32 v18, v18, 2.0, -v16
	;; [unrolled: 1-line block ×4, first 2 shown]
	s_barrier
	ds_write2_b64 v20, v[17:18], v[34:35] offset1:36
	ds_write2_b64 v20, v[15:16], v[30:31] offset0:72 offset1:108
	v_mov_b32_e32 v15, 0x480
	v_cndmask_b32_e64 v15, 0, v15, s[0:1]
	v_add_u32_e32 v15, 0, v15
	v_lshlrev_b32_e32 v16, 3, v52
	v_sub_f32_e32 v30, v32, v55
	v_sub_f32_e32 v31, v33, v56
	;; [unrolled: 1-line block ×4, first 2 shown]
	v_add3_u32 v34, v15, v16, v14
	v_fma_f32 v16, v32, 2.0, -v30
	v_fma_f32 v17, v33, 2.0, -v31
	;; [unrolled: 1-line block ×4, first 2 shown]
	v_sub_f32_e32 v14, v16, v14
	v_sub_f32_e32 v15, v17, v15
	;; [unrolled: 1-line block ×3, first 2 shown]
	v_add_f32_e32 v19, v31, v19
	v_fma_f32 v16, v16, 2.0, -v14
	v_fma_f32 v17, v17, 2.0, -v15
	;; [unrolled: 1-line block ×4, first 2 shown]
	ds_write2_b64 v34, v[16:17], v[30:31] offset1:36
	ds_write2_b64 v34, v[14:15], v[18:19] offset0:72 offset1:108
	v_sub_f32_e32 v30, v40, v42
	v_sub_f32_e32 v31, v41, v37
	;; [unrolled: 1-line block ×4, first 2 shown]
	v_fma_f32 v16, v40, 2.0, -v30
	v_fma_f32 v17, v41, 2.0, -v31
	;; [unrolled: 1-line block ×4, first 2 shown]
	v_sub_f32_e32 v14, v16, v14
	v_sub_f32_e32 v15, v17, v15
	;; [unrolled: 1-line block ×3, first 2 shown]
	v_add_f32_e32 v19, v31, v19
	v_fma_f32 v16, v16, 2.0, -v14
	v_fma_f32 v17, v17, 2.0, -v15
	;; [unrolled: 1-line block ×4, first 2 shown]
	ds_write2_b64 v20, v[16:17], v[30:31] offset0:156 offset1:192
	ds_write2_b64 v29, v[14:15], v[18:19] offset0:100 offset1:136
	v_lshlrev_b64 v[14:15], 3, v[0:1]
	s_waitcnt lgkmcnt(0)
	v_add_co_u32_e64 v18, s[0:1], s8, v14
	v_addc_co_u32_e64 v19, s[0:1], v53, v15, s[0:1]
	v_lshlrev_b64 v[14:15], 3, v[4:5]
	s_barrier
	global_load_dwordx2 v[34:35], v[18:19], off offset:1104
	v_add_co_u32_e64 v14, s[0:1], s8, v14
	v_lshlrev_b64 v[5:6], 3, v[6:7]
	v_addc_co_u32_e64 v15, s[0:1], v53, v15, s[0:1]
	v_add_co_u32_e64 v16, s[0:1], s8, v5
	v_addc_co_u32_e64 v17, s[0:1], v53, v6, s[0:1]
	v_lshlrev_b64 v[5:6], 3, v[12:13]
	global_load_dwordx2 v[38:39], v[14:15], off offset:1104
	global_load_dwordx2 v[40:41], v[16:17], off offset:1104
	v_add_co_u32_e64 v12, s[0:1], s8, v5
	v_addc_co_u32_e64 v13, s[0:1], v53, v6, s[0:1]
	v_lshlrev_b64 v[5:6], 3, v[10:11]
	global_load_dwordx2 v[42:43], v[12:13], off offset:1104
	v_add_co_u32_e64 v10, s[0:1], s8, v5
	v_addc_co_u32_e64 v11, s[0:1], v53, v6, s[0:1]
	v_lshlrev_b64 v[5:6], 3, v[8:9]
	global_load_dwordx2 v[7:8], v[10:11], off offset:1104
	v_add_co_u32_e64 v5, s[0:1], s8, v5
	v_addc_co_u32_e64 v6, s[0:1], v53, v6, s[0:1]
	global_load_dwordx2 v[44:45], v[5:6], off offset:1104
	ds_read2_b64 v[30:33], v20 offset0:144 offset1:168
	v_cmp_ne_u32_e64 s[0:1], 0, v0
	s_waitcnt vmcnt(5) lgkmcnt(0)
	v_mul_f32_e32 v1, v35, v31
	v_mul_f32_e32 v9, v35, v30
	v_fma_f32 v1, v34, v30, -v1
	v_fmac_f32_e32 v9, v34, v31
	ds_read2_b64 v[34:37], v20 offset0:192 offset1:216
	s_waitcnt vmcnt(4)
	v_mul_f32_e32 v30, v39, v33
	v_fma_f32 v46, v38, v32, -v30
	s_waitcnt vmcnt(3) lgkmcnt(0)
	v_mul_f32_e32 v30, v41, v35
	v_mul_f32_e32 v47, v39, v32
	v_fma_f32 v48, v40, v34, -v30
	ds_read2_b64 v[29:32], v29 offset0:112 offset1:136
	v_fmac_f32_e32 v47, v38, v33
	s_waitcnt vmcnt(2)
	v_mul_f32_e32 v33, v43, v37
	v_fma_f32 v49, v42, v36, -v33
	v_mul_f32_e32 v43, v43, v36
	v_fmac_f32_e32 v43, v42, v37
	v_mul_f32_e32 v41, v41, v34
	v_fmac_f32_e32 v41, v40, v35
	s_waitcnt vmcnt(1) lgkmcnt(0)
	v_mul_f32_e32 v33, v8, v30
	v_mul_f32_e32 v50, v8, v29
	v_fma_f32 v42, v7, v29, -v33
	v_fmac_f32_e32 v50, v7, v30
	ds_read_b64 v[7:8], v22
	s_waitcnt vmcnt(0)
	v_mul_f32_e32 v29, v32, v45
	v_mul_f32_e32 v45, v31, v45
	v_fma_f32 v51, v31, v44, -v29
	v_fmac_f32_e32 v45, v32, v44
	ds_read_b64 v[31:32], v26
	ds_read_b64 v[33:34], v28
	;; [unrolled: 1-line block ×5, first 2 shown]
	s_waitcnt lgkmcnt(5)
	v_sub_f32_e32 v29, v7, v1
	v_sub_f32_e32 v30, v8, v9
	v_fma_f32 v7, v7, 2.0, -v29
	v_fma_f32 v8, v8, 2.0, -v30
	s_waitcnt lgkmcnt(0)
	s_barrier
	ds_write2_b64 v20, v[7:8], v[29:30] offset1:144
	v_sub_f32_e32 v7, v35, v46
	v_sub_f32_e32 v8, v36, v47
	v_fma_f32 v29, v35, 2.0, -v7
	v_fma_f32 v30, v36, 2.0, -v8
	ds_write2_b64 v21, v[29:30], v[7:8] offset1:144
	v_sub_f32_e32 v7, v31, v48
	v_sub_f32_e32 v8, v32, v41
	v_fma_f32 v20, v31, 2.0, -v7
	v_fma_f32 v21, v32, 2.0, -v8
	;; [unrolled: 5-line block ×5, first 2 shown]
	ds_write2_b64 v27, v[20:21], v[7:8] offset1:144
	s_waitcnt lgkmcnt(0)
	s_barrier
	ds_read_b64 v[20:21], v22
	v_sub_u32_e32 v1, v23, v24
                                        ; implicit-def: $vgpr7
                                        ; implicit-def: $vgpr9
                                        ; implicit-def: $vgpr24
	s_and_saveexec_b64 s[4:5], s[0:1]
	s_xor_b64 s[0:1], exec, s[4:5]
	s_cbranch_execz .LBB0_14
; %bb.13:
	global_load_dwordx2 v[8:9], v[18:19], off offset:2256
	ds_read_b64 v[18:19], v1 offset:2304
	s_waitcnt lgkmcnt(0)
	v_add_f32_e32 v7, v18, v20
	v_sub_f32_e32 v18, v20, v18
	v_add_f32_e32 v24, v19, v21
	v_sub_f32_e32 v19, v21, v19
	v_mul_f32_e32 v18, 0.5, v18
	v_mul_f32_e32 v20, 0.5, v24
	;; [unrolled: 1-line block ×3, first 2 shown]
	s_waitcnt vmcnt(0)
	v_mul_f32_e32 v21, v9, v18
	v_fma_f32 v24, v20, v9, v19
	v_fma_f32 v19, v20, v9, -v19
	v_fma_f32 v9, 0.5, v7, v21
	v_fma_f32 v7, v7, 0.5, -v21
	v_fma_f32 v24, -v8, v18, v24
	v_fmac_f32_e32 v9, v8, v20
	v_fma_f32 v7, -v8, v20, v7
	v_fma_f32 v8, -v8, v18, v19
                                        ; implicit-def: $vgpr20_vgpr21
.LBB0_14:
	s_andn2_saveexec_b64 s[0:1], s[0:1]
	s_cbranch_execz .LBB0_16
; %bb.15:
	ds_read_b32 v8, v23 offset:1156
	s_waitcnt lgkmcnt(1)
	v_add_f32_e32 v9, v20, v21
	v_sub_f32_e32 v7, v20, v21
	v_mov_b32_e32 v24, 0
	s_waitcnt lgkmcnt(0)
	v_xor_b32_e32 v8, 0x80000000, v8
	ds_write_b32 v23, v8 offset:1156
	v_mov_b32_e32 v8, 0
.LBB0_16:
	s_or_b64 exec, exec, s[0:1]
	global_load_dwordx2 v[18:19], v[14:15], off offset:2256
	s_waitcnt lgkmcnt(0)
	global_load_dwordx2 v[20:21], v[16:17], off offset:2256
	global_load_dwordx2 v[29:30], v[12:13], off offset:2256
	ds_write2_b32 v22, v9, v24 offset1:1
	ds_write_b64 v1, v[7:8] offset:2304
	v_lshl_add_u32 v4, v4, 3, v23
	ds_read_b64 v[7:8], v4
	ds_read_b64 v[12:13], v1 offset:2112
	global_load_dwordx2 v[9:10], v[10:11], off offset:2256
	s_waitcnt lgkmcnt(0)
	v_add_f32_e32 v11, v7, v12
	v_sub_f32_e32 v7, v7, v12
	v_add_f32_e32 v14, v8, v13
	v_sub_f32_e32 v8, v8, v13
	v_mul_f32_e32 v7, 0.5, v7
	v_mul_f32_e32 v12, 0.5, v14
	;; [unrolled: 1-line block ×3, first 2 shown]
	s_waitcnt vmcnt(3)
	v_mul_f32_e32 v13, v19, v7
	v_fma_f32 v14, v12, v19, v8
	v_fma_f32 v15, 0.5, v11, v13
	v_fma_f32 v8, v12, v19, -v8
	v_fma_f32 v14, -v18, v7, v14
	v_fma_f32 v11, v11, 0.5, -v13
	v_fmac_f32_e32 v15, v18, v12
	v_fma_f32 v8, -v18, v7, v8
	v_fma_f32 v7, -v18, v12, v11
	ds_write2_b32 v4, v15, v14 offset1:1
	ds_write_b64 v1, v[7:8] offset:2112
	ds_read_b64 v[7:8], v26
	ds_read_b64 v[11:12], v1 offset:1920
	global_load_dwordx2 v[4:5], v[5:6], off offset:2256
	s_waitcnt lgkmcnt(0)
	v_add_f32_e32 v6, v7, v11
	v_sub_f32_e32 v7, v7, v11
	v_add_f32_e32 v13, v8, v12
	v_sub_f32_e32 v8, v8, v12
	v_mul_f32_e32 v7, 0.5, v7
	v_mul_f32_e32 v11, 0.5, v13
	;; [unrolled: 1-line block ×3, first 2 shown]
	s_waitcnt vmcnt(3)
	v_mul_f32_e32 v12, v21, v7
	v_fma_f32 v13, v11, v21, v8
	v_fma_f32 v14, 0.5, v6, v12
	v_fma_f32 v8, v11, v21, -v8
	v_fma_f32 v13, -v20, v7, v13
	v_fma_f32 v6, v6, 0.5, -v12
	v_fmac_f32_e32 v14, v20, v11
	v_fma_f32 v7, -v20, v7, v8
	v_fma_f32 v6, -v20, v11, v6
	ds_write2_b32 v26, v14, v13 offset1:1
	ds_write_b64 v1, v[6:7] offset:1920
	ds_read_b64 v[6:7], v28
	ds_read_b64 v[11:12], v1 offset:1728
	s_waitcnt lgkmcnt(0)
	v_add_f32_e32 v8, v6, v11
	v_sub_f32_e32 v6, v6, v11
	v_add_f32_e32 v13, v7, v12
	v_sub_f32_e32 v7, v7, v12
	v_mul_f32_e32 v6, 0.5, v6
	v_mul_f32_e32 v11, 0.5, v13
	;; [unrolled: 1-line block ×3, first 2 shown]
	s_waitcnt vmcnt(2)
	v_mul_f32_e32 v12, v30, v6
	v_fma_f32 v13, v11, v30, v7
	v_fma_f32 v14, 0.5, v8, v12
	v_fma_f32 v7, v11, v30, -v7
	v_fma_f32 v13, -v29, v6, v13
	v_fma_f32 v8, v8, 0.5, -v12
	v_fmac_f32_e32 v14, v29, v11
	v_fma_f32 v7, -v29, v6, v7
	v_fma_f32 v6, -v29, v11, v8
	ds_write2_b32 v28, v14, v13 offset1:1
	ds_write_b64 v1, v[6:7] offset:1728
	ds_read_b64 v[6:7], v25
	ds_read_b64 v[11:12], v1 offset:1536
	s_waitcnt lgkmcnt(0)
	v_add_f32_e32 v8, v6, v11
	v_sub_f32_e32 v6, v6, v11
	v_add_f32_e32 v13, v7, v12
	v_sub_f32_e32 v7, v7, v12
	v_mul_f32_e32 v6, 0.5, v6
	v_mul_f32_e32 v11, 0.5, v13
	;; [unrolled: 1-line block ×3, first 2 shown]
	s_waitcnt vmcnt(1)
	v_mul_f32_e32 v12, v10, v6
	v_fma_f32 v13, v11, v10, v7
	v_fma_f32 v7, v11, v10, -v7
	v_fma_f32 v10, 0.5, v8, v12
	v_fma_f32 v13, -v9, v6, v13
	v_fma_f32 v8, v8, 0.5, -v12
	v_fmac_f32_e32 v10, v9, v11
	v_fma_f32 v7, -v9, v6, v7
	v_fma_f32 v6, -v9, v11, v8
	ds_write2_b32 v25, v10, v13 offset1:1
	ds_write_b64 v1, v[6:7] offset:1536
	ds_read_b64 v[6:7], v27
	ds_read_b64 v[8:9], v1 offset:1344
	s_waitcnt lgkmcnt(0)
	v_add_f32_e32 v10, v6, v8
	v_sub_f32_e32 v6, v6, v8
	v_add_f32_e32 v11, v7, v9
	v_sub_f32_e32 v7, v7, v9
	v_mul_f32_e32 v6, 0.5, v6
	v_mul_f32_e32 v8, 0.5, v11
	;; [unrolled: 1-line block ×3, first 2 shown]
	s_waitcnt vmcnt(0)
	v_mul_f32_e32 v9, v5, v6
	v_fma_f32 v11, v8, v5, v7
	v_fma_f32 v5, v8, v5, -v7
	v_fma_f32 v7, 0.5, v10, v9
	v_fma_f32 v11, -v4, v6, v11
	v_fma_f32 v9, v10, 0.5, -v9
	v_fmac_f32_e32 v7, v4, v8
	v_fma_f32 v5, -v4, v6, v5
	v_fma_f32 v4, -v4, v8, v9
	ds_write2_b32 v27, v7, v11 offset1:1
	ds_write_b64 v1, v[4:5] offset:1344
	s_waitcnt lgkmcnt(0)
	s_barrier
	s_and_saveexec_b64 s[0:1], vcc
	s_cbranch_execz .LBB0_19
; %bb.17:
	v_mov_b32_e32 v1, 0
	ds_read2_b64 v[4:7], v22 offset1:24
	v_mov_b32_e32 v8, s3
	v_add_co_u32_e32 v2, vcc, s2, v2
	v_lshlrev_b64 v[12:13], 3, v[0:1]
	v_addc_co_u32_e32 v3, vcc, v8, v3, vcc
	ds_read2_b64 v[8:11], v22 offset0:48 offset1:72
	v_add_co_u32_e32 v16, vcc, v2, v12
	v_addc_co_u32_e32 v17, vcc, v3, v13, vcc
	ds_read2_b64 v[12:15], v22 offset0:96 offset1:120
	s_waitcnt lgkmcnt(2)
	global_store_dwordx2 v[16:17], v[4:5], off
	global_store_dwordx2 v[16:17], v[6:7], off offset:192
	s_waitcnt lgkmcnt(1)
	global_store_dwordx2 v[16:17], v[8:9], off offset:384
	global_store_dwordx2 v[16:17], v[10:11], off offset:576
	s_waitcnt lgkmcnt(0)
	global_store_dwordx2 v[16:17], v[12:13], off offset:768
	ds_read2_b64 v[4:7], v22 offset0:144 offset1:168
	ds_read2_b64 v[8:11], v22 offset0:192 offset1:216
	v_add_u32_e32 v1, 0x400, v22
	global_store_dwordx2 v[16:17], v[14:15], off offset:960
	ds_read2_b64 v[12:15], v1 offset0:112 offset1:136
	v_cmp_eq_u32_e32 vcc, 23, v0
	s_waitcnt lgkmcnt(2)
	global_store_dwordx2 v[16:17], v[4:5], off offset:1152
	global_store_dwordx2 v[16:17], v[6:7], off offset:1344
	s_waitcnt lgkmcnt(1)
	global_store_dwordx2 v[16:17], v[8:9], off offset:1536
	global_store_dwordx2 v[16:17], v[10:11], off offset:1728
	;; [unrolled: 3-line block ×3, first 2 shown]
	s_and_b64 exec, exec, vcc
	s_cbranch_execz .LBB0_19
; %bb.18:
	ds_read_b64 v[0:1], v22 offset:2120
	s_waitcnt lgkmcnt(0)
	global_store_dwordx2 v[2:3], v[0:1], off offset:2304
.LBB0_19:
	s_endpgm
	.section	.rodata,"a",@progbits
	.p2align	6, 0x0
	.amdhsa_kernel fft_rtc_fwd_len288_factors_6_6_4_2_wgs_120_tpt_24_halfLds_sp_ip_CI_unitstride_sbrr_R2C_dirReg
		.amdhsa_group_segment_fixed_size 0
		.amdhsa_private_segment_fixed_size 0
		.amdhsa_kernarg_size 88
		.amdhsa_user_sgpr_count 6
		.amdhsa_user_sgpr_private_segment_buffer 1
		.amdhsa_user_sgpr_dispatch_ptr 0
		.amdhsa_user_sgpr_queue_ptr 0
		.amdhsa_user_sgpr_kernarg_segment_ptr 1
		.amdhsa_user_sgpr_dispatch_id 0
		.amdhsa_user_sgpr_flat_scratch_init 0
		.amdhsa_user_sgpr_private_segment_size 0
		.amdhsa_uses_dynamic_stack 0
		.amdhsa_system_sgpr_private_segment_wavefront_offset 0
		.amdhsa_system_sgpr_workgroup_id_x 1
		.amdhsa_system_sgpr_workgroup_id_y 0
		.amdhsa_system_sgpr_workgroup_id_z 0
		.amdhsa_system_sgpr_workgroup_info 0
		.amdhsa_system_vgpr_workitem_id 0
		.amdhsa_next_free_vgpr 61
		.amdhsa_next_free_sgpr 22
		.amdhsa_reserve_vcc 1
		.amdhsa_reserve_flat_scratch 0
		.amdhsa_float_round_mode_32 0
		.amdhsa_float_round_mode_16_64 0
		.amdhsa_float_denorm_mode_32 3
		.amdhsa_float_denorm_mode_16_64 3
		.amdhsa_dx10_clamp 1
		.amdhsa_ieee_mode 1
		.amdhsa_fp16_overflow 0
		.amdhsa_exception_fp_ieee_invalid_op 0
		.amdhsa_exception_fp_denorm_src 0
		.amdhsa_exception_fp_ieee_div_zero 0
		.amdhsa_exception_fp_ieee_overflow 0
		.amdhsa_exception_fp_ieee_underflow 0
		.amdhsa_exception_fp_ieee_inexact 0
		.amdhsa_exception_int_div_zero 0
	.end_amdhsa_kernel
	.text
.Lfunc_end0:
	.size	fft_rtc_fwd_len288_factors_6_6_4_2_wgs_120_tpt_24_halfLds_sp_ip_CI_unitstride_sbrr_R2C_dirReg, .Lfunc_end0-fft_rtc_fwd_len288_factors_6_6_4_2_wgs_120_tpt_24_halfLds_sp_ip_CI_unitstride_sbrr_R2C_dirReg
                                        ; -- End function
	.section	.AMDGPU.csdata,"",@progbits
; Kernel info:
; codeLenInByte = 5976
; NumSgprs: 26
; NumVgprs: 61
; ScratchSize: 0
; MemoryBound: 0
; FloatMode: 240
; IeeeMode: 1
; LDSByteSize: 0 bytes/workgroup (compile time only)
; SGPRBlocks: 3
; VGPRBlocks: 15
; NumSGPRsForWavesPerEU: 26
; NumVGPRsForWavesPerEU: 61
; Occupancy: 4
; WaveLimiterHint : 1
; COMPUTE_PGM_RSRC2:SCRATCH_EN: 0
; COMPUTE_PGM_RSRC2:USER_SGPR: 6
; COMPUTE_PGM_RSRC2:TRAP_HANDLER: 0
; COMPUTE_PGM_RSRC2:TGID_X_EN: 1
; COMPUTE_PGM_RSRC2:TGID_Y_EN: 0
; COMPUTE_PGM_RSRC2:TGID_Z_EN: 0
; COMPUTE_PGM_RSRC2:TIDIG_COMP_CNT: 0
	.type	__hip_cuid_abf8c69e980a859b,@object ; @__hip_cuid_abf8c69e980a859b
	.section	.bss,"aw",@nobits
	.globl	__hip_cuid_abf8c69e980a859b
__hip_cuid_abf8c69e980a859b:
	.byte	0                               ; 0x0
	.size	__hip_cuid_abf8c69e980a859b, 1

	.ident	"AMD clang version 19.0.0git (https://github.com/RadeonOpenCompute/llvm-project roc-6.4.0 25133 c7fe45cf4b819c5991fe208aaa96edf142730f1d)"
	.section	".note.GNU-stack","",@progbits
	.addrsig
	.addrsig_sym __hip_cuid_abf8c69e980a859b
	.amdgpu_metadata
---
amdhsa.kernels:
  - .args:
      - .actual_access:  read_only
        .address_space:  global
        .offset:         0
        .size:           8
        .value_kind:     global_buffer
      - .offset:         8
        .size:           8
        .value_kind:     by_value
      - .actual_access:  read_only
        .address_space:  global
        .offset:         16
        .size:           8
        .value_kind:     global_buffer
      - .actual_access:  read_only
        .address_space:  global
        .offset:         24
        .size:           8
        .value_kind:     global_buffer
      - .offset:         32
        .size:           8
        .value_kind:     by_value
      - .actual_access:  read_only
        .address_space:  global
        .offset:         40
        .size:           8
        .value_kind:     global_buffer
      - .actual_access:  read_only
        .address_space:  global
        .offset:         48
        .size:           8
        .value_kind:     global_buffer
      - .offset:         56
        .size:           4
        .value_kind:     by_value
      - .actual_access:  read_only
        .address_space:  global
        .offset:         64
        .size:           8
        .value_kind:     global_buffer
      - .actual_access:  read_only
        .address_space:  global
        .offset:         72
        .size:           8
        .value_kind:     global_buffer
      - .address_space:  global
        .offset:         80
        .size:           8
        .value_kind:     global_buffer
    .group_segment_fixed_size: 0
    .kernarg_segment_align: 8
    .kernarg_segment_size: 88
    .language:       OpenCL C
    .language_version:
      - 2
      - 0
    .max_flat_workgroup_size: 120
    .name:           fft_rtc_fwd_len288_factors_6_6_4_2_wgs_120_tpt_24_halfLds_sp_ip_CI_unitstride_sbrr_R2C_dirReg
    .private_segment_fixed_size: 0
    .sgpr_count:     26
    .sgpr_spill_count: 0
    .symbol:         fft_rtc_fwd_len288_factors_6_6_4_2_wgs_120_tpt_24_halfLds_sp_ip_CI_unitstride_sbrr_R2C_dirReg.kd
    .uniform_work_group_size: 1
    .uses_dynamic_stack: false
    .vgpr_count:     61
    .vgpr_spill_count: 0
    .wavefront_size: 64
amdhsa.target:   amdgcn-amd-amdhsa--gfx906
amdhsa.version:
  - 1
  - 2
...

	.end_amdgpu_metadata
